;; amdgpu-corpus repo=ROCm/rocm-libraries kind=compiled arch=gfx1250 opt=O3
	.amdgcn_target "amdgcn-amd-amdhsa--gfx1250"
	.amdhsa_code_object_version 6
	.text
	.protected	KthvalueFwd             ; -- Begin function KthvalueFwd
	.globl	KthvalueFwd
	.p2align	8
	.type	KthvalueFwd,@function
KthvalueFwd:                            ; @KthvalueFwd
; %bb.0:
	s_load_b128 s[4:7], s[0:1], 0x30
	s_bfe_u32 s2, ttmp6, 0x4000c
	s_and_b32 s3, ttmp6, 15
	s_add_co_i32 s2, s2, 1
	s_wait_kmcnt 0x0
	s_getreg_b32 s6, hwreg(HW_REG_IB_STS2, 6, 4)
	s_mul_i32 s2, ttmp9, s2
	s_mov_b32 s35, 0
	s_add_co_i32 s3, s3, s2
	s_cmp_eq_u32 s6, 0
	s_cselect_b32 s34, ttmp9, s3
	s_delay_alu instid0(SALU_CYCLE_1)
	v_cmp_le_u64_e64 s2, s[4:5], s[34:35]
	s_and_b32 vcc_lo, exec_lo, s2
	s_cbranch_vccnz .LBB0_69
; %bb.1:
	s_clause 0x3
	s_load_b64 s[2:3], s[0:1], 0x70
	s_load_b256 s[36:43], s[0:1], 0x0
	s_load_b128 s[28:31], s[0:1], 0x20
	s_load_b128 s[60:63], s[0:1], 0x60
	s_mov_b64 s[68:69], 0
	s_mov_b64 s[70:71], 0
	s_wait_kmcnt 0x0
	v_cmp_lt_u64_e64 s4, s[34:35], s[2:3]
	s_and_b32 vcc_lo, exec_lo, s4
	s_cbranch_vccnz .LBB0_3
; %bb.2:
	v_cvt_f32_u32_e32 v1, s2
	s_sub_co_i32 s5, 0, s2
	s_mov_b32 s71, 0
	s_delay_alu instid0(VALU_DEP_1) | instskip(SKIP_1) | instid1(TRANS32_DEP_1)
	v_rcp_iflag_f32_e32 v1, v1
	v_nop
	v_mul_f32_e32 v1, 0x4f7ffffe, v1
	s_delay_alu instid0(VALU_DEP_1) | instskip(NEXT) | instid1(VALU_DEP_1)
	v_cvt_u32_f32_e32 v1, v1
	v_readfirstlane_b32 s4, v1
	s_mul_i32 s5, s5, s4
	s_delay_alu instid0(SALU_CYCLE_1) | instskip(NEXT) | instid1(SALU_CYCLE_1)
	s_mul_hi_u32 s5, s4, s5
	s_add_co_i32 s4, s4, s5
	s_delay_alu instid0(SALU_CYCLE_1) | instskip(NEXT) | instid1(SALU_CYCLE_1)
	s_mul_hi_u32 s4, s34, s4
	s_mul_i32 s5, s4, s2
	s_add_co_i32 s6, s4, 1
	s_sub_co_i32 s5, s34, s5
	s_delay_alu instid0(SALU_CYCLE_1)
	s_sub_co_i32 s7, s5, s2
	s_cmp_ge_u32 s5, s2
	s_cselect_b32 s4, s6, s4
	s_cselect_b32 s5, s7, s5
	s_add_co_i32 s6, s4, 1
	s_cmp_ge_u32 s5, s2
	s_cselect_b32 s70, s6, s4
.LBB0_3:
	s_clause 0x1
	s_load_b64 s[64:65], s[0:1], 0x98
	s_load_b256 s[44:51], s[0:1], 0x78
	v_cmp_lt_u64_e64 s4, s[70:71], s[62:63]
	s_and_b32 vcc_lo, exec_lo, s4
	s_cbranch_vccnz .LBB0_5
; %bb.4:
	v_cvt_f32_u32_e32 v1, s62
	s_sub_co_i32 s5, 0, s62
	s_mov_b32 s69, 0
	s_delay_alu instid0(VALU_DEP_1) | instskip(SKIP_1) | instid1(TRANS32_DEP_1)
	v_rcp_iflag_f32_e32 v1, v1
	v_nop
	v_mul_f32_e32 v1, 0x4f7ffffe, v1
	s_delay_alu instid0(VALU_DEP_1) | instskip(NEXT) | instid1(VALU_DEP_1)
	v_cvt_u32_f32_e32 v1, v1
	v_readfirstlane_b32 s4, v1
	s_mul_i32 s5, s5, s4
	s_delay_alu instid0(SALU_CYCLE_1) | instskip(NEXT) | instid1(SALU_CYCLE_1)
	s_mul_hi_u32 s5, s4, s5
	s_add_co_i32 s4, s4, s5
	s_delay_alu instid0(SALU_CYCLE_1) | instskip(NEXT) | instid1(SALU_CYCLE_1)
	s_mul_hi_u32 s4, s70, s4
	s_mul_i32 s5, s4, s62
	s_add_co_i32 s6, s4, 1
	s_sub_co_i32 s5, s70, s5
	s_delay_alu instid0(SALU_CYCLE_1)
	s_sub_co_i32 s7, s5, s62
	s_cmp_ge_u32 s5, s62
	s_cselect_b32 s4, s6, s4
	s_cselect_b32 s5, s7, s5
	s_add_co_i32 s6, s4, 1
	s_cmp_ge_u32 s5, s62
	s_cselect_b32 s68, s6, s4
.LBB0_5:
	s_load_b256 s[4:11], s[0:1], 0x38
	v_cmp_lt_u64_e64 s12, s[68:69], s[60:61]
	s_mov_b64 s[72:73], 0
	s_and_b32 vcc_lo, exec_lo, s12
	s_cbranch_vccnz .LBB0_7
; %bb.6:
	v_cvt_f32_u32_e32 v1, s60
	s_sub_co_i32 s13, 0, s60
	s_mov_b32 s73, 0
	s_delay_alu instid0(VALU_DEP_1) | instskip(SKIP_1) | instid1(TRANS32_DEP_1)
	v_rcp_iflag_f32_e32 v1, v1
	v_nop
	v_mul_f32_e32 v1, 0x4f7ffffe, v1
	s_delay_alu instid0(VALU_DEP_1) | instskip(NEXT) | instid1(VALU_DEP_1)
	v_cvt_u32_f32_e32 v1, v1
	v_readfirstlane_b32 s12, v1
	s_mul_i32 s13, s13, s12
	s_delay_alu instid0(SALU_CYCLE_1) | instskip(NEXT) | instid1(SALU_CYCLE_1)
	s_mul_hi_u32 s13, s12, s13
	s_add_co_i32 s12, s12, s13
	s_delay_alu instid0(SALU_CYCLE_1) | instskip(NEXT) | instid1(SALU_CYCLE_1)
	s_mul_hi_u32 s12, s68, s12
	s_mul_i32 s13, s12, s60
	s_add_co_i32 s14, s12, 1
	s_sub_co_i32 s13, s68, s13
	s_delay_alu instid0(SALU_CYCLE_1)
	s_sub_co_i32 s15, s13, s60
	s_cmp_ge_u32 s13, s60
	s_cselect_b32 s12, s14, s12
	s_cselect_b32 s13, s15, s13
	s_add_co_i32 s14, s12, 1
	s_cmp_ge_u32 s13, s60
	s_cselect_b32 s72, s14, s12
.LBB0_7:
	s_clause 0x2
	s_load_b512 s[12:27], s[0:1], 0xa8
	s_load_b64 s[66:67], s[0:1], 0xe8
	s_load_b256 s[52:59], s[0:1], 0xf8
	s_wait_xcnt 0x0
	s_mul_u64 s[0:1], s[68:69], s[62:63]
	v_dual_mov_b32 v2, 0 :: v_dual_lshlrev_b32 v20, 5, v0
	s_mul_u64 s[2:3], s[70:71], s[2:3]
	s_sub_nc_u64 s[0:1], s[70:71], s[0:1]
	s_sub_nc_u64 s[2:3], s[34:35], s[2:3]
	s_mul_u64 s[60:61], s[72:73], s[60:61]
	s_wait_kmcnt 0x0
	s_mul_u64 s[0:1], s[0:1], s[8:9]
	s_sub_nc_u64 s[60:61], s[68:69], s[60:61]
	s_lshl_b64 s[0:1], s[0:1], 2
	s_mul_u64 s[2:3], s[2:3], s[10:11]
	v_mov_b32_e32 v1, v2
	s_add_nc_u64 s[0:1], s[36:37], s[0:1]
	s_lshl_b64 s[2:3], s[2:3], 2
	s_mul_u64 s[6:7], s[60:61], s[6:7]
	s_mul_u64 s[4:5], s[72:73], s[4:5]
	s_add_nc_u64 s[2:3], s[0:1], s[2:3]
	s_lshl_b64 s[6:7], s[6:7], 2
	v_cmp_gt_u64_e64 s1, s[28:29], v[0:1]
	s_add_nc_u64 s[2:3], s[2:3], s[6:7]
	s_lshl_b64 s[4:5], s[4:5], 2
	v_mov_b64_e32 v[12:13], s[42:43]
	s_add_nc_u64 s[36:37], s[2:3], s[4:5]
	v_cmp_gt_u32_e64 s2, 0x80, v0
	v_cmp_gt_u32_e64 s3, 64, v0
	;; [unrolled: 1-line block ×7, first 2 shown]
	v_cmp_eq_u32_e64 s0, 0, v0
	s_mov_b32 s60, 0
	s_mov_b32 s9, 30
	;; [unrolled: 1-line block ×3, first 2 shown]
                                        ; implicit-def: $vgpr14_vgpr15
                                        ; implicit-def: $vgpr16_vgpr17
	s_branch .LBB0_9
.LBB0_8:                                ;   in Loop: Header=BB0_9 Depth=1
	s_and_not1_b32 vcc_lo, exec_lo, s63
	s_cbranch_vccz .LBB0_44
.LBB0_9:                                ; =>This Loop Header: Depth=1
                                        ;     Child Loop BB0_12 Depth 2
	v_mov_b64_e32 v[4:5], 0
	v_mov_b64_e32 v[6:7], 0
	;; [unrolled: 1-line block ×4, first 2 shown]
	s_mov_b32 s33, s9
	s_mov_b32 s42, s61
	;; [unrolled: 1-line block ×3, first 2 shown]
	s_and_saveexec_b32 s60, s1
	s_cbranch_execz .LBB0_15
; %bb.10:                               ;   in Loop: Header=BB0_9 Depth=1
	v_dual_mov_b32 v7, v2 :: v_dual_mov_b32 v8, v2
	v_dual_mov_b32 v9, v2 :: v_dual_mov_b32 v3, v2
	;; [unrolled: 1-line block ×3, first 2 shown]
	v_mov_b32_e32 v6, v2
	s_delay_alu instid0(VALU_DEP_3) | instskip(NEXT) | instid1(VALU_DEP_2)
	v_mov_b64_e32 v[10:11], v[8:9]
	v_mov_b64_e32 v[8:9], v[6:7]
	s_delay_alu instid0(VALU_DEP_4)
	v_mov_b64_e32 v[6:7], v[4:5]
	v_mov_b64_e32 v[4:5], v[2:3]
	;; [unrolled: 1-line block ×3, first 2 shown]
	s_mov_b32 s61, 0
	s_branch .LBB0_12
.LBB0_11:                               ;   in Loop: Header=BB0_12 Depth=2
	s_or_b32 exec_lo, exec_lo, s62
	v_add_nc_u64_e32 v[18:19], 0x100, v[18:19]
	s_delay_alu instid0(VALU_DEP_1) | instskip(SKIP_1) | instid1(SALU_CYCLE_1)
	v_cmp_le_u64_e32 vcc_lo, s[28:29], v[18:19]
	s_or_b32 s61, vcc_lo, s61
	s_and_not1_b32 exec_lo, exec_lo, s61
	s_cbranch_execz .LBB0_14
.LBB0_12:                               ;   Parent Loop BB0_9 Depth=1
                                        ; =>  This Inner Loop Header: Depth=2
	s_delay_alu instid0(VALU_DEP_1) | instskip(SKIP_1) | instid1(VALU_DEP_1)
	v_mul_u64_e32 v[22:23], s[30:31], v[18:19]
	s_mov_b32 s62, exec_lo
	v_lshl_add_u64 v[22:23], v[22:23], 2, s[36:37]
	global_load_b32 v3, v[22:23], off
	s_wait_loadcnt 0x0
	v_cmp_lt_i32_e32 vcc_lo, -1, v3
	v_cndmask_b32_e64 v21, -1, 0x80000000, vcc_lo
	v_cmp_o_f32_e32 vcc_lo, v3, v3
	s_delay_alu instid0(VALU_DEP_2) | instskip(NEXT) | instid1(VALU_DEP_1)
	v_xor_b32_e32 v21, v21, v3
	v_cndmask_b32_e32 v3, -1, v21, vcc_lo
	s_delay_alu instid0(VALU_DEP_1) | instskip(NEXT) | instid1(VALU_DEP_1)
	v_and_b32_e32 v21, s43, v3
	v_cmpx_eq_u32_e64 s42, v21
	s_cbranch_execz .LBB0_11
; %bb.13:                               ;   in Loop: Header=BB0_12 Depth=2
	v_lshrrev_b32_e32 v3, s33, v3
	s_delay_alu instid0(VALU_DEP_1) | instskip(NEXT) | instid1(VALU_DEP_1)
	v_and_b32_e32 v3, 3, v3
	v_cmp_eq_u32_e32 vcc_lo, 1, v3
	v_cmp_eq_u32_e64 s9, 2, v3
	v_dual_cndmask_b32 v22, v4, v6 :: v_dual_cndmask_b32 v21, v5, v7
	s_delay_alu instid0(VALU_DEP_1) | instskip(SKIP_2) | instid1(VALU_DEP_2)
	v_dual_cndmask_b32 v22, v22, v8, s9 :: v_dual_cndmask_b32 v21, v21, v9, s9
	v_cmp_eq_u32_e64 s10, 3, v3
	v_cmp_eq_u32_e64 s11, 0, v3
	v_dual_cndmask_b32 v23, v21, v11, s10 :: v_dual_cndmask_b32 v22, v22, v10, s10
	s_delay_alu instid0(VALU_DEP_1) | instskip(NEXT) | instid1(VALU_DEP_1)
	v_add_nc_u64_e32 v[22:23], 1, v[22:23]
	v_dual_cndmask_b32 v11, v11, v23, s10 :: v_dual_cndmask_b32 v10, v10, v22, s10
	v_dual_cndmask_b32 v9, v9, v23, s9 :: v_dual_cndmask_b32 v8, v8, v22, s9
	v_dual_cndmask_b32 v7, v7, v23 :: v_dual_cndmask_b32 v6, v6, v22
	v_dual_cndmask_b32 v5, v5, v23, s11 :: v_dual_cndmask_b32 v4, v4, v22, s11
	s_branch .LBB0_11
.LBB0_14:                               ;   in Loop: Header=BB0_9 Depth=1
	s_or_b32 exec_lo, exec_lo, s61
.LBB0_15:                               ;   in Loop: Header=BB0_9 Depth=1
	s_delay_alu instid0(SALU_CYCLE_1)
	s_or_b32 exec_lo, exec_lo, s60
	ds_store_b128 v20, v[4:7]
	ds_store_b128 v20, v[8:11] offset:16
	s_wait_dscnt 0x0
	s_barrier_signal -1
	s_barrier_wait -1
	s_and_saveexec_b32 s9, s2
	s_cbranch_execz .LBB0_17
; %bb.16:                               ;   in Loop: Header=BB0_9 Depth=1
	ds_load_b128 v[4:7], v20 offset:4096
	ds_load_b128 v[8:11], v20
	ds_load_b128 v[22:25], v20 offset:16
	ds_load_b128 v[26:29], v20 offset:4112
	s_wait_dscnt 0x2
	v_add_nc_u64_e32 v[4:5], v[8:9], v[4:5]
	v_add_nc_u64_e32 v[6:7], v[10:11], v[6:7]
	s_wait_dscnt 0x0
	v_add_nc_u64_e32 v[8:9], v[22:23], v[26:27]
	v_add_nc_u64_e32 v[10:11], v[24:25], v[28:29]
	ds_store_b128 v20, v[4:7]
	ds_store_b128 v20, v[8:11] offset:16
.LBB0_17:                               ;   in Loop: Header=BB0_9 Depth=1
	s_or_b32 exec_lo, exec_lo, s9
	s_wait_dscnt 0x0
	s_barrier_signal -1
	s_barrier_wait -1
	s_and_saveexec_b32 s9, s3
	s_cbranch_execz .LBB0_19
; %bb.18:                               ;   in Loop: Header=BB0_9 Depth=1
	ds_load_b128 v[4:7], v20 offset:2048
	ds_load_b128 v[8:11], v20
	ds_load_b128 v[22:25], v20 offset:16
	ds_load_b128 v[26:29], v20 offset:2064
	s_wait_dscnt 0x2
	v_add_nc_u64_e32 v[4:5], v[8:9], v[4:5]
	v_add_nc_u64_e32 v[6:7], v[10:11], v[6:7]
	s_wait_dscnt 0x0
	v_add_nc_u64_e32 v[8:9], v[22:23], v[26:27]
	v_add_nc_u64_e32 v[10:11], v[24:25], v[28:29]
	ds_store_b128 v20, v[4:7]
	ds_store_b128 v20, v[8:11] offset:16
.LBB0_19:                               ;   in Loop: Header=BB0_9 Depth=1
	s_or_b32 exec_lo, exec_lo, s9
	;; [unrolled: 20-line block ×8, first 2 shown]
	s_wait_dscnt 0x0
	s_barrier_signal -1
	s_barrier_wait -1
	ds_load_b128 v[4:7], v2
	ds_load_b128 v[8:11], v2 offset:16
	s_mov_b32 s9, 0
	s_mov_b64 s[10:11], 0
	s_wait_dscnt 0x0
	s_barrier_signal -1
	s_barrier_wait -1
	v_cmp_le_u64_e64 s60, v[12:13], v[4:5]
	s_and_b32 vcc_lo, exec_lo, s60
	s_cbranch_vccnz .LBB0_35
; %bb.32:                               ;   in Loop: Header=BB0_9 Depth=1
	v_sub_nc_u64_e32 v[12:13], v[12:13], v[4:5]
	s_delay_alu instid0(VALU_DEP_1)
	v_cmp_gt_u64_e32 vcc_lo, v[12:13], v[6:7]
	v_cmp_le_u64_e64 s60, v[12:13], v[6:7]
	s_cbranch_vccz .LBB0_36
; %bb.33:                               ;   in Loop: Header=BB0_9 Depth=1
	v_sub_nc_u64_e32 v[12:13], v[12:13], v[6:7]
	s_delay_alu instid0(VALU_DEP_1)
	v_cmp_gt_u64_e32 vcc_lo, v[12:13], v[8:9]
	v_cmp_le_u64_e64 s60, v[12:13], v[8:9]
	s_cbranch_vccz .LBB0_37
; %bb.34:                               ;   in Loop: Header=BB0_9 Depth=1
	v_sub_nc_u64_e32 v[14:15], v[12:13], v[8:9]
	v_mov_b64_e32 v[16:17], v[10:11]
	s_mov_b32 s62, -1
	s_mov_b64 s[10:11], 3
	v_mov_b64_e32 v[6:7], v[10:11]
	s_delay_alu instid0(VALU_DEP_3) | instskip(SKIP_1) | instid1(VALU_DEP_3)
	v_cmp_le_u64_e64 s60, v[14:15], v[10:11]
	v_mov_b64_e32 v[12:13], v[14:15]
	v_mov_b64_e32 v[4:5], v[6:7]
	s_and_b32 vcc_lo, exec_lo, s60
                                        ; implicit-def: $sgpr61
                                        ; implicit-def: $sgpr60
	s_cbranch_vccz .LBB0_40
	s_branch .LBB0_38
.LBB0_35:                               ;   in Loop: Header=BB0_9 Depth=1
	s_mov_b32 s62, 0
	s_and_b32 vcc_lo, exec_lo, s60
                                        ; implicit-def: $sgpr61
                                        ; implicit-def: $sgpr60
	s_cbranch_vccnz .LBB0_38
	s_branch .LBB0_40
.LBB0_36:                               ;   in Loop: Header=BB0_9 Depth=1
	s_mov_b32 s62, 0
	s_mov_b64 s[10:11], 1
	v_mov_b64_e32 v[4:5], v[6:7]
	s_and_b32 vcc_lo, exec_lo, s60
                                        ; implicit-def: $sgpr61
                                        ; implicit-def: $sgpr60
	s_cbranch_vccz .LBB0_40
	s_branch .LBB0_38
.LBB0_37:                               ;   in Loop: Header=BB0_9 Depth=1
	s_mov_b32 s62, 0
	s_mov_b64 s[10:11], 2
	v_mov_b64_e32 v[6:7], v[8:9]
	s_delay_alu instid0(VALU_DEP_1)
	v_mov_b64_e32 v[4:5], v[6:7]
	s_and_b32 vcc_lo, exec_lo, s60
                                        ; implicit-def: $sgpr61
                                        ; implicit-def: $sgpr60
	s_cbranch_vccz .LBB0_40
.LBB0_38:                               ;   in Loop: Header=BB0_9 Depth=1
	s_delay_alu instid0(VALU_DEP_1) | instskip(SKIP_3) | instid1(SALU_CYCLE_1)
	v_cmp_ne_u64_e32 vcc_lo, 1, v[4:5]
	s_cmp_lg_u32 s33, 0
	s_mov_b32 s62, 0
	s_cselect_b32 s9, -1, 0
                                        ; implicit-def: $sgpr60
                                        ; implicit-def: $sgpr61
	s_and_b32 s9, s9, vcc_lo
	s_delay_alu instid0(SALU_CYCLE_1)
	s_and_b32 vcc_lo, exec_lo, s9
	s_mov_b32 s9, 0
	s_cbranch_vccz .LBB0_40
; %bb.39:                               ;   in Loop: Header=BB0_9 Depth=1
	s_lshl_b32 s9, s10, s33
	s_lshl_b32 s60, 3, s33
	s_or_b32 s61, s9, s42
	s_or_b32 s60, s60, s43
	s_mov_b32 s9, -1
.LBB0_40:                               ;   in Loop: Header=BB0_9 Depth=1
	s_and_b32 vcc_lo, exec_lo, s62
	s_cbranch_vccz .LBB0_42
; %bb.41:                               ;   in Loop: Header=BB0_9 Depth=1
	v_sub_nc_u64_e32 v[12:13], v[14:15], v[16:17]
	s_mov_b32 s9, -1
	s_mov_b32 s61, s42
	s_mov_b32 s60, s43
.LBB0_42:                               ;   in Loop: Header=BB0_9 Depth=1
	s_mov_b32 s62, -1
	s_and_not1_b32 vcc_lo, exec_lo, s9
	s_mov_b32 s63, -1
                                        ; implicit-def: $sgpr9
	s_cbranch_vccnz .LBB0_8
; %bb.43:                               ;   in Loop: Header=BB0_9 Depth=1
	s_add_co_i32 s9, s33, -2
	s_cmp_eq_u32 s33, 0
	s_mov_b32 s62, 0
	s_cselect_b32 s63, -1, 0
	s_branch .LBB0_8
.LBB0_44:
	s_and_b32 vcc_lo, exec_lo, s62
	s_cbranch_vccz .LBB0_51
; %bb.45:
	s_and_saveexec_b32 s2, s1
	s_cbranch_execz .LBB0_50
; %bb.46:
	v_mov_b32_e32 v3, 0
	s_mov_b32 s3, 0
	s_branch .LBB0_48
.LBB0_47:                               ;   in Loop: Header=BB0_48 Depth=1
	s_or_b32 exec_lo, exec_lo, s1
	v_add_nc_u64_e32 v[0:1], 0x100, v[0:1]
	s_delay_alu instid0(VALU_DEP_1) | instskip(SKIP_1) | instid1(SALU_CYCLE_1)
	v_cmp_le_u64_e32 vcc_lo, s[28:29], v[0:1]
	s_or_b32 s3, vcc_lo, s3
	s_and_not1_b32 exec_lo, exec_lo, s3
	s_cbranch_execz .LBB0_50
.LBB0_48:                               ; =>This Inner Loop Header: Depth=1
	v_mul_u64_e32 v[4:5], s[30:31], v[0:1]
	s_delay_alu instid0(VALU_DEP_1)
	v_lshl_add_u64 v[4:5], v[4:5], 2, s[36:37]
	global_load_b32 v4, v[4:5], off
	s_wait_loadcnt 0x0
	v_cmp_lt_i32_e32 vcc_lo, -1, v4
	v_cndmask_b32_e64 v2, -1, 0x80000000, vcc_lo
	v_cmp_o_f32_e32 vcc_lo, v4, v4
	s_delay_alu instid0(VALU_DEP_2) | instskip(SKIP_1) | instid1(VALU_DEP_1)
	v_xor_b32_e32 v2, v2, v4
	s_wait_xcnt 0x0
	v_cndmask_b32_e32 v5, -1, v2, vcc_lo
	s_delay_alu instid0(VALU_DEP_1) | instskip(SKIP_1) | instid1(VALU_DEP_2)
	v_bfe_u32 v2, v5, s33, 2
	v_and_b32_e32 v5, s43, v5
	v_cmp_eq_u64_e32 vcc_lo, s[10:11], v[2:3]
	s_delay_alu instid0(VALU_DEP_2) | instskip(SKIP_1) | instid1(SALU_CYCLE_1)
	v_cmp_eq_u32_e64 s1, s42, v5
	s_and_b32 s4, s1, vcc_lo
	s_and_saveexec_b32 s1, s4
	s_cbranch_execz .LBB0_47
; %bb.49:                               ;   in Loop: Header=BB0_48 Depth=1
	ds_store_b32 v3, v4 offset:8200
	ds_store_b64 v3, v[0:1] offset:8192
	s_branch .LBB0_47
.LBB0_50:
	s_or_b32 exec_lo, exec_lo, s2
.LBB0_51:
	s_wait_dscnt 0x0
	s_barrier_signal -1
	s_barrier_wait -1
	s_and_saveexec_b32 s1, s0
	s_cbranch_execz .LBB0_69
; %bb.52:
	v_cmp_lt_u64_e64 s2, s[34:35], s[18:19]
	s_mov_b64 s[0:1], 0
	s_and_b32 vcc_lo, exec_lo, s2
	s_mov_b64 s[2:3], 0
	s_cbranch_vccnz .LBB0_54
; %bb.53:
	v_cvt_f32_u32_e32 v0, s18
	s_sub_co_i32 s3, 0, s18
	s_delay_alu instid0(VALU_DEP_1) | instskip(SKIP_1) | instid1(TRANS32_DEP_1)
	v_rcp_iflag_f32_e32 v0, v0
	v_nop
	v_mul_f32_e32 v0, 0x4f7ffffe, v0
	s_delay_alu instid0(VALU_DEP_1) | instskip(NEXT) | instid1(VALU_DEP_1)
	v_cvt_u32_f32_e32 v0, v0
	v_readfirstlane_b32 s2, v0
	s_mul_i32 s3, s3, s2
	s_delay_alu instid0(SALU_CYCLE_1) | instskip(NEXT) | instid1(SALU_CYCLE_1)
	s_mul_hi_u32 s3, s2, s3
	s_add_co_i32 s2, s2, s3
	s_delay_alu instid0(SALU_CYCLE_1) | instskip(NEXT) | instid1(SALU_CYCLE_1)
	s_mul_hi_u32 s2, s34, s2
	s_mul_i32 s3, s2, s18
	s_add_co_i32 s4, s2, 1
	s_sub_co_i32 s3, s34, s3
	s_delay_alu instid0(SALU_CYCLE_1)
	s_sub_co_i32 s5, s3, s18
	s_cmp_ge_u32 s3, s18
	s_cselect_b32 s2, s4, s2
	s_cselect_b32 s3, s5, s3
	s_add_co_i32 s4, s2, 1
	s_cmp_ge_u32 s3, s18
	s_mov_b32 s3, 0
	s_cselect_b32 s2, s4, s2
.LBB0_54:
	s_delay_alu instid0(SALU_CYCLE_1)
	v_cmp_lt_u64_e64 s4, s[2:3], s[16:17]
	s_and_b32 vcc_lo, exec_lo, s4
	s_cbranch_vccnz .LBB0_56
; %bb.55:
	v_cvt_f32_u32_e32 v0, s16
	s_sub_co_i32 s1, 0, s16
	s_delay_alu instid0(VALU_DEP_1) | instskip(SKIP_1) | instid1(TRANS32_DEP_1)
	v_rcp_iflag_f32_e32 v0, v0
	v_nop
	v_mul_f32_e32 v0, 0x4f7ffffe, v0
	s_delay_alu instid0(VALU_DEP_1) | instskip(NEXT) | instid1(VALU_DEP_1)
	v_cvt_u32_f32_e32 v0, v0
	v_readfirstlane_b32 s0, v0
	s_mul_i32 s1, s1, s0
	s_delay_alu instid0(SALU_CYCLE_1) | instskip(NEXT) | instid1(SALU_CYCLE_1)
	s_mul_hi_u32 s1, s0, s1
	s_add_co_i32 s0, s0, s1
	s_delay_alu instid0(SALU_CYCLE_1) | instskip(NEXT) | instid1(SALU_CYCLE_1)
	s_mul_hi_u32 s0, s2, s0
	s_mul_i32 s1, s0, s16
	s_add_co_i32 s4, s0, 1
	s_sub_co_i32 s1, s2, s1
	s_delay_alu instid0(SALU_CYCLE_1)
	s_sub_co_i32 s5, s1, s16
	s_cmp_ge_u32 s1, s16
	s_cselect_b32 s0, s4, s0
	s_cselect_b32 s1, s5, s1
	s_add_co_i32 s4, s0, 1
	s_cmp_ge_u32 s1, s16
	s_mov_b32 s1, 0
	s_cselect_b32 s0, s4, s0
.LBB0_56:
	s_delay_alu instid0(SALU_CYCLE_1)
	v_cmp_lt_u64_e64 s6, s[0:1], s[14:15]
	s_mov_b64 s[4:5], 0
	s_and_b32 vcc_lo, exec_lo, s6
	s_mov_b64 s[6:7], 0
	s_cbranch_vccnz .LBB0_58
; %bb.57:
	v_cvt_f32_u32_e32 v0, s14
	s_sub_co_i32 s7, 0, s14
	s_delay_alu instid0(VALU_DEP_1) | instskip(SKIP_1) | instid1(TRANS32_DEP_1)
	v_rcp_iflag_f32_e32 v0, v0
	v_nop
	v_mul_f32_e32 v0, 0x4f7ffffe, v0
	s_delay_alu instid0(VALU_DEP_1) | instskip(NEXT) | instid1(VALU_DEP_1)
	v_cvt_u32_f32_e32 v0, v0
	v_readfirstlane_b32 s6, v0
	s_mul_i32 s7, s7, s6
	s_delay_alu instid0(SALU_CYCLE_1) | instskip(NEXT) | instid1(SALU_CYCLE_1)
	s_mul_hi_u32 s7, s6, s7
	s_add_co_i32 s6, s6, s7
	s_delay_alu instid0(SALU_CYCLE_1) | instskip(NEXT) | instid1(SALU_CYCLE_1)
	s_mul_hi_u32 s6, s0, s6
	s_mul_i32 s7, s6, s14
	s_add_co_i32 s8, s6, 1
	s_sub_co_i32 s7, s0, s7
	s_delay_alu instid0(SALU_CYCLE_1)
	s_sub_co_i32 s9, s7, s14
	s_cmp_ge_u32 s7, s14
	s_cselect_b32 s6, s8, s6
	s_cselect_b32 s7, s9, s7
	s_add_co_i32 s8, s6, 1
	s_cmp_ge_u32 s7, s14
	s_mov_b32 s7, 0
	s_cselect_b32 s6, s8, s6
.LBB0_58:
	s_delay_alu instid0(SALU_CYCLE_1)
	v_cmp_lt_u64_e64 s8, s[6:7], s[12:13]
	s_and_b32 vcc_lo, exec_lo, s8
	s_cbranch_vccnz .LBB0_60
; %bb.59:
	v_cvt_f32_u32_e32 v0, s12
	s_sub_co_i32 s5, 0, s12
	s_delay_alu instid0(VALU_DEP_1) | instskip(SKIP_1) | instid1(TRANS32_DEP_1)
	v_rcp_iflag_f32_e32 v0, v0
	v_nop
	v_mul_f32_e32 v0, 0x4f7ffffe, v0
	s_delay_alu instid0(VALU_DEP_1) | instskip(NEXT) | instid1(VALU_DEP_1)
	v_cvt_u32_f32_e32 v0, v0
	v_readfirstlane_b32 s4, v0
	s_mul_i32 s5, s5, s4
	s_delay_alu instid0(SALU_CYCLE_1) | instskip(NEXT) | instid1(SALU_CYCLE_1)
	s_mul_hi_u32 s5, s4, s5
	s_add_co_i32 s4, s4, s5
	s_delay_alu instid0(SALU_CYCLE_1) | instskip(NEXT) | instid1(SALU_CYCLE_1)
	s_mul_hi_u32 s4, s6, s4
	s_mul_i32 s5, s4, s12
	s_add_co_i32 s8, s4, 1
	s_sub_co_i32 s5, s6, s5
	s_delay_alu instid0(SALU_CYCLE_1)
	s_sub_co_i32 s9, s5, s12
	s_cmp_ge_u32 s5, s12
	s_cselect_b32 s4, s8, s4
	s_cselect_b32 s5, s9, s5
	s_add_co_i32 s8, s4, 1
	s_cmp_ge_u32 s5, s12
	s_mov_b32 s5, 0
	s_cselect_b32 s4, s8, s4
.LBB0_60:
	v_cmp_lt_u64_e64 s8, s[34:35], s[58:59]
	s_mov_b64 s[10:11], 0
	s_mov_b64 s[28:29], 0
	s_and_b32 vcc_lo, exec_lo, s8
	s_cbranch_vccnz .LBB0_62
; %bb.61:
	v_cvt_f32_u32_e32 v0, s58
	s_sub_co_i32 s9, 0, s58
	s_delay_alu instid0(VALU_DEP_1) | instskip(SKIP_1) | instid1(TRANS32_DEP_1)
	v_rcp_iflag_f32_e32 v0, v0
	v_nop
	v_mul_f32_e32 v0, 0x4f7ffffe, v0
	s_delay_alu instid0(VALU_DEP_1) | instskip(NEXT) | instid1(VALU_DEP_1)
	v_cvt_u32_f32_e32 v0, v0
	v_readfirstlane_b32 s8, v0
	s_mul_i32 s9, s9, s8
	s_delay_alu instid0(SALU_CYCLE_1) | instskip(NEXT) | instid1(SALU_CYCLE_1)
	s_mul_hi_u32 s9, s8, s9
	s_add_co_i32 s8, s8, s9
	s_delay_alu instid0(SALU_CYCLE_1) | instskip(NEXT) | instid1(SALU_CYCLE_1)
	s_mul_hi_u32 s8, s34, s8
	s_mul_i32 s9, s8, s58
	s_add_co_i32 s28, s8, 1
	s_sub_co_i32 s9, s34, s9
	s_delay_alu instid0(SALU_CYCLE_1)
	s_sub_co_i32 s29, s9, s58
	s_cmp_ge_u32 s9, s58
	s_cselect_b32 s8, s28, s8
	s_cselect_b32 s9, s29, s9
	s_add_co_i32 s28, s8, 1
	s_cmp_ge_u32 s9, s58
	s_mov_b32 s29, 0
	s_cselect_b32 s28, s28, s8
.LBB0_62:
	s_delay_alu instid0(SALU_CYCLE_1)
	v_cmp_lt_u64_e64 s8, s[28:29], s[56:57]
	s_and_b32 vcc_lo, exec_lo, s8
	s_cbranch_vccnz .LBB0_64
; %bb.63:
	v_cvt_f32_u32_e32 v0, s56
	s_sub_co_i32 s9, 0, s56
	s_delay_alu instid0(VALU_DEP_1) | instskip(SKIP_1) | instid1(TRANS32_DEP_1)
	v_rcp_iflag_f32_e32 v0, v0
	v_nop
	v_mul_f32_e32 v0, 0x4f7ffffe, v0
	s_delay_alu instid0(VALU_DEP_1) | instskip(NEXT) | instid1(VALU_DEP_1)
	v_cvt_u32_f32_e32 v0, v0
	v_readfirstlane_b32 s8, v0
	s_mul_i32 s9, s9, s8
	s_delay_alu instid0(SALU_CYCLE_1) | instskip(NEXT) | instid1(SALU_CYCLE_1)
	s_mul_hi_u32 s9, s8, s9
	s_add_co_i32 s8, s8, s9
	s_delay_alu instid0(SALU_CYCLE_1) | instskip(NEXT) | instid1(SALU_CYCLE_1)
	s_mul_hi_u32 s8, s28, s8
	s_mul_i32 s9, s8, s56
	s_add_co_i32 s10, s8, 1
	s_sub_co_i32 s9, s28, s9
	s_delay_alu instid0(SALU_CYCLE_1)
	s_sub_co_i32 s11, s9, s56
	s_cmp_ge_u32 s9, s56
	s_cselect_b32 s8, s10, s8
	s_cselect_b32 s9, s11, s9
	s_add_co_i32 s10, s8, 1
	s_cmp_ge_u32 s9, s56
	s_mov_b32 s11, 0
	s_cselect_b32 s10, s10, s8
.LBB0_64:
	s_delay_alu instid0(SALU_CYCLE_1)
	v_cmp_lt_u64_e64 s30, s[10:11], s[54:55]
	s_mov_b64 s[8:9], 0
	s_and_b32 vcc_lo, exec_lo, s30
	s_mov_b64 s[30:31], 0
	s_cbranch_vccnz .LBB0_66
; %bb.65:
	v_cvt_f32_u32_e32 v0, s54
	s_sub_co_i32 s31, 0, s54
	s_delay_alu instid0(VALU_DEP_1) | instskip(SKIP_1) | instid1(TRANS32_DEP_1)
	v_rcp_iflag_f32_e32 v0, v0
	v_nop
	v_mul_f32_e32 v0, 0x4f7ffffe, v0
	s_delay_alu instid0(VALU_DEP_1) | instskip(NEXT) | instid1(VALU_DEP_1)
	v_cvt_u32_f32_e32 v0, v0
	v_readfirstlane_b32 s30, v0
	s_mul_i32 s31, s31, s30
	s_delay_alu instid0(SALU_CYCLE_1) | instskip(NEXT) | instid1(SALU_CYCLE_1)
	s_mul_hi_u32 s31, s30, s31
	s_add_co_i32 s30, s30, s31
	s_delay_alu instid0(SALU_CYCLE_1) | instskip(NEXT) | instid1(SALU_CYCLE_1)
	s_mul_hi_u32 s30, s10, s30
	s_mul_i32 s31, s30, s54
	s_add_co_i32 s33, s30, 1
	s_sub_co_i32 s31, s10, s31
	s_delay_alu instid0(SALU_CYCLE_1)
	s_sub_co_i32 s36, s31, s54
	s_cmp_ge_u32 s31, s54
	s_cselect_b32 s30, s33, s30
	s_cselect_b32 s31, s36, s31
	s_add_co_i32 s33, s30, 1
	s_cmp_ge_u32 s31, s54
	s_mov_b32 s31, 0
	s_cselect_b32 s30, s33, s30
.LBB0_66:
	s_delay_alu instid0(SALU_CYCLE_1)
	v_cmp_lt_u64_e64 s33, s[30:31], s[52:53]
	s_and_b32 vcc_lo, exec_lo, s33
	s_cbranch_vccnz .LBB0_68
; %bb.67:
	v_cvt_f32_u32_e32 v0, s52
	s_sub_co_i32 s9, 0, s52
	s_delay_alu instid0(VALU_DEP_1) | instskip(SKIP_1) | instid1(TRANS32_DEP_1)
	v_rcp_iflag_f32_e32 v0, v0
	v_nop
	v_mul_f32_e32 v0, 0x4f7ffffe, v0
	s_delay_alu instid0(VALU_DEP_1) | instskip(NEXT) | instid1(VALU_DEP_1)
	v_cvt_u32_f32_e32 v0, v0
	v_readfirstlane_b32 s8, v0
	s_mul_i32 s9, s9, s8
	s_delay_alu instid0(SALU_CYCLE_1) | instskip(NEXT) | instid1(SALU_CYCLE_1)
	s_mul_hi_u32 s9, s8, s9
	s_add_co_i32 s8, s8, s9
	s_delay_alu instid0(SALU_CYCLE_1) | instskip(NEXT) | instid1(SALU_CYCLE_1)
	s_mul_hi_u32 s8, s30, s8
	s_mul_i32 s9, s8, s52
	s_add_co_i32 s33, s8, 1
	s_sub_co_i32 s9, s30, s9
	s_delay_alu instid0(SALU_CYCLE_1)
	s_sub_co_i32 s36, s9, s52
	s_cmp_ge_u32 s9, s52
	s_cselect_b32 s8, s33, s8
	s_cselect_b32 s9, s36, s9
	s_add_co_i32 s33, s8, 1
	s_cmp_ge_u32 s9, s52
	s_mov_b32 s9, 0
	s_cselect_b32 s8, s33, s8
.LBB0_68:
	s_mul_u64 s[12:13], s[4:5], s[12:13]
	v_mov_b32_e32 v2, 0
	s_sub_nc_u64 s[12:13], s[6:7], s[12:13]
	s_mul_u64 s[6:7], s[6:7], s[14:15]
	s_mul_u64 s[14:15], s[0:1], s[16:17]
	s_sub_nc_u64 s[0:1], s[0:1], s[6:7]
	s_sub_nc_u64 s[6:7], s[2:3], s[14:15]
	s_mul_u64 s[2:3], s[2:3], s[18:19]
	s_mul_u64 s[6:7], s[6:7], s[50:51]
	s_sub_nc_u64 s[2:3], s[34:35], s[2:3]
	ds_load_b64 v[0:1], v2 offset:8192
	ds_load_b32 v3, v2 offset:8200
	s_mul_u64 s[2:3], s[2:3], s[64:65]
	s_mul_u64 s[36:37], s[30:31], s[54:55]
	s_lshl_b64 s[2:3], s[2:3], 2
	s_mul_u64 s[42:43], s[10:11], s[56:57]
	s_add_nc_u64 s[2:3], s[38:39], s[2:3]
	s_lshl_b64 s[6:7], s[6:7], 2
	s_mul_u64 s[0:1], s[0:1], s[48:49]
	s_sub_nc_u64 s[10:11], s[10:11], s[36:37]
	s_sub_nc_u64 s[36:37], s[28:29], s[42:43]
	s_mul_u64 s[28:29], s[28:29], s[58:59]
	s_add_nc_u64 s[2:3], s[2:3], s[6:7]
	s_lshl_b64 s[0:1], s[0:1], 2
	s_mul_u64 s[6:7], s[12:13], s[46:47]
	s_sub_nc_u64 s[28:29], s[34:35], s[28:29]
	s_add_nc_u64 s[0:1], s[2:3], s[0:1]
	s_lshl_b64 s[2:3], s[6:7], 2
	s_mul_u64 s[14:15], s[8:9], s[52:53]
	s_add_nc_u64 s[0:1], s[0:1], s[2:3]
	s_mul_u64 s[2:3], s[28:29], s[66:67]
	s_mul_u64 s[6:7], s[36:37], s[26:27]
	s_lshl_b64 s[2:3], s[2:3], 3
	s_sub_nc_u64 s[14:15], s[30:31], s[14:15]
	s_add_nc_u64 s[2:3], s[40:41], s[2:3]
	s_lshl_b64 s[6:7], s[6:7], 3
	s_mul_u64 s[10:11], s[10:11], s[24:25]
	s_add_nc_u64 s[2:3], s[2:3], s[6:7]
	s_lshl_b64 s[6:7], s[10:11], 3
	s_mul_u64 s[10:11], s[14:15], s[22:23]
	s_mul_u64 s[4:5], s[4:5], s[44:45]
	s_add_nc_u64 s[2:3], s[2:3], s[6:7]
	s_lshl_b64 s[6:7], s[10:11], 3
	s_mul_u64 s[8:9], s[8:9], s[20:21]
	s_lshl_b64 s[4:5], s[4:5], 2
	s_add_nc_u64 s[2:3], s[2:3], s[6:7]
	s_lshl_b64 s[6:7], s[8:9], 3
	s_add_nc_u64 s[0:1], s[0:1], s[4:5]
	s_add_nc_u64 s[2:3], s[2:3], s[6:7]
	s_wait_dscnt 0x0
	s_clause 0x1
	global_store_b32 v2, v3, s[0:1]
	global_store_b64 v2, v[0:1], s[2:3]
.LBB0_69:
	s_endpgm
	.section	.rodata,"a",@progbits
	.p2align	6, 0x0
	.amdhsa_kernel KthvalueFwd
		.amdhsa_group_segment_fixed_size 8208
		.amdhsa_private_segment_fixed_size 0
		.amdhsa_kernarg_size 280
		.amdhsa_user_sgpr_count 2
		.amdhsa_user_sgpr_dispatch_ptr 0
		.amdhsa_user_sgpr_queue_ptr 0
		.amdhsa_user_sgpr_kernarg_segment_ptr 1
		.amdhsa_user_sgpr_dispatch_id 0
		.amdhsa_user_sgpr_kernarg_preload_length 0
		.amdhsa_user_sgpr_kernarg_preload_offset 0
		.amdhsa_user_sgpr_private_segment_size 0
		.amdhsa_wavefront_size32 1
		.amdhsa_uses_dynamic_stack 0
		.amdhsa_enable_private_segment 0
		.amdhsa_system_sgpr_workgroup_id_x 1
		.amdhsa_system_sgpr_workgroup_id_y 0
		.amdhsa_system_sgpr_workgroup_id_z 0
		.amdhsa_system_sgpr_workgroup_info 0
		.amdhsa_system_vgpr_workitem_id 0
		.amdhsa_next_free_vgpr 30
		.amdhsa_next_free_sgpr 74
		.amdhsa_named_barrier_count 0
		.amdhsa_reserve_vcc 1
		.amdhsa_float_round_mode_32 0
		.amdhsa_float_round_mode_16_64 0
		.amdhsa_float_denorm_mode_32 3
		.amdhsa_float_denorm_mode_16_64 3
		.amdhsa_fp16_overflow 0
		.amdhsa_memory_ordered 1
		.amdhsa_forward_progress 1
		.amdhsa_inst_pref_size 30
		.amdhsa_round_robin_scheduling 0
		.amdhsa_exception_fp_ieee_invalid_op 0
		.amdhsa_exception_fp_denorm_src 0
		.amdhsa_exception_fp_ieee_div_zero 0
		.amdhsa_exception_fp_ieee_overflow 0
		.amdhsa_exception_fp_ieee_underflow 0
		.amdhsa_exception_fp_ieee_inexact 0
		.amdhsa_exception_int_div_zero 0
	.end_amdhsa_kernel
	.text
.Lfunc_end0:
	.size	KthvalueFwd, .Lfunc_end0-KthvalueFwd
                                        ; -- End function
	.set KthvalueFwd.num_vgpr, 30
	.set KthvalueFwd.num_agpr, 0
	.set KthvalueFwd.numbered_sgpr, 74
	.set KthvalueFwd.num_named_barrier, 0
	.set KthvalueFwd.private_seg_size, 0
	.set KthvalueFwd.uses_vcc, 1
	.set KthvalueFwd.uses_flat_scratch, 0
	.set KthvalueFwd.has_dyn_sized_stack, 0
	.set KthvalueFwd.has_recursion, 0
	.set KthvalueFwd.has_indirect_call, 0
	.section	.AMDGPU.csdata,"",@progbits
; Kernel info:
; codeLenInByte = 3804
; TotalNumSgprs: 76
; NumVgprs: 30
; ScratchSize: 0
; MemoryBound: 0
; FloatMode: 240
; IeeeMode: 1
; LDSByteSize: 8208 bytes/workgroup (compile time only)
; SGPRBlocks: 0
; VGPRBlocks: 1
; NumSGPRsForWavesPerEU: 76
; NumVGPRsForWavesPerEU: 30
; NamedBarCnt: 0
; Occupancy: 16
; WaveLimiterHint : 1
; COMPUTE_PGM_RSRC2:SCRATCH_EN: 0
; COMPUTE_PGM_RSRC2:USER_SGPR: 2
; COMPUTE_PGM_RSRC2:TRAP_HANDLER: 0
; COMPUTE_PGM_RSRC2:TGID_X_EN: 1
; COMPUTE_PGM_RSRC2:TGID_Y_EN: 0
; COMPUTE_PGM_RSRC2:TGID_Z_EN: 0
; COMPUTE_PGM_RSRC2:TIDIG_COMP_CNT: 0
	.text
	.p2alignl 7, 3214868480
	.fill 96, 4, 3214868480
	.section	.AMDGPU.gpr_maximums,"",@progbits
	.set amdgpu.max_num_vgpr, 0
	.set amdgpu.max_num_agpr, 0
	.set amdgpu.max_num_sgpr, 0
	.text
	.type	__hip_cuid_70821653a1641886,@object ; @__hip_cuid_70821653a1641886
	.section	.bss,"aw",@nobits
	.globl	__hip_cuid_70821653a1641886
__hip_cuid_70821653a1641886:
	.byte	0                               ; 0x0
	.size	__hip_cuid_70821653a1641886, 1

	.ident	"AMD clang version 22.0.0git (https://github.com/RadeonOpenCompute/llvm-project roc-7.2.4 26084 f58b06dce1f9c15707c5f808fd002e18c2accf7e)"
	.section	".note.GNU-stack","",@progbits
	.addrsig
	.addrsig_sym __hip_cuid_70821653a1641886
	.amdgpu_metadata
---
amdhsa.kernels:
  - .args:
      - .address_space:  global
        .offset:         0
        .size:           8
        .value_kind:     global_buffer
      - .address_space:  global
        .offset:         8
        .size:           8
        .value_kind:     global_buffer
      - .address_space:  global
        .offset:         16
        .size:           8
        .value_kind:     global_buffer
      - .offset:         24
        .size:           8
        .value_kind:     by_value
      - .offset:         32
        .size:           8
        .value_kind:     by_value
      - .offset:         40
        .size:           8
        .value_kind:     by_value
      - .offset:         48
        .size:           8
        .value_kind:     by_value
      - .offset:         56
        .size:           64
        .value_kind:     by_value
      - .offset:         120
        .size:           80
        .value_kind:     by_value
      - .offset:         200
        .size:           80
        .value_kind:     by_value
    .group_segment_fixed_size: 8208
    .kernarg_segment_align: 8
    .kernarg_segment_size: 280
    .language:       OpenCL C
    .language_version:
      - 2
      - 0
    .max_flat_workgroup_size: 1024
    .name:           KthvalueFwd
    .private_segment_fixed_size: 0
    .sgpr_count:     76
    .sgpr_spill_count: 0
    .symbol:         KthvalueFwd.kd
    .uniform_work_group_size: 1
    .uses_dynamic_stack: false
    .vgpr_count:     30
    .vgpr_spill_count: 0
    .wavefront_size: 32
amdhsa.target:   amdgcn-amd-amdhsa--gfx1250
amdhsa.version:
  - 1
  - 2
...

	.end_amdgpu_metadata
